;; amdgpu-corpus repo=ROCm/rocFFT kind=compiled arch=gfx950 opt=O3
	.text
	.amdgcn_target "amdgcn-amd-amdhsa--gfx950"
	.amdhsa_code_object_version 6
	.protected	fft_rtc_back_len1728_factors_3_6_6_16_wgs_108_tpt_108_halfLds_dp_ip_CI_unitstride_sbrr_dirReg ; -- Begin function fft_rtc_back_len1728_factors_3_6_6_16_wgs_108_tpt_108_halfLds_dp_ip_CI_unitstride_sbrr_dirReg
	.globl	fft_rtc_back_len1728_factors_3_6_6_16_wgs_108_tpt_108_halfLds_dp_ip_CI_unitstride_sbrr_dirReg
	.p2align	8
	.type	fft_rtc_back_len1728_factors_3_6_6_16_wgs_108_tpt_108_halfLds_dp_ip_CI_unitstride_sbrr_dirReg,@function
fft_rtc_back_len1728_factors_3_6_6_16_wgs_108_tpt_108_halfLds_dp_ip_CI_unitstride_sbrr_dirReg: ; @fft_rtc_back_len1728_factors_3_6_6_16_wgs_108_tpt_108_halfLds_dp_ip_CI_unitstride_sbrr_dirReg
; %bb.0:
	s_load_dwordx2 s[8:9], s[0:1], 0x50
	s_load_dwordx4 s[4:7], s[0:1], 0x0
	s_load_dwordx2 s[10:11], s[0:1], 0x18
	v_mul_u32_u24_e32 v1, 0x25f, v0
	v_add_u32_sdwa v6, s2, v1 dst_sel:DWORD dst_unused:UNUSED_PAD src0_sel:DWORD src1_sel:WORD_1
	v_mov_b32_e32 v4, 0
	s_waitcnt lgkmcnt(0)
	v_cmp_lt_u64_e64 s[2:3], s[6:7], 2
	v_mov_b32_e32 v7, v4
	s_and_b64 vcc, exec, s[2:3]
	v_mov_b64_e32 v[2:3], 0
	s_cbranch_vccnz .LBB0_8
; %bb.1:
	s_load_dwordx2 s[2:3], s[0:1], 0x10
	s_add_u32 s12, s10, 8
	s_addc_u32 s13, s11, 0
	s_mov_b64 s[14:15], 1
	v_mov_b64_e32 v[2:3], 0
	s_waitcnt lgkmcnt(0)
	s_add_u32 s16, s2, 8
	s_addc_u32 s17, s3, 0
.LBB0_2:                                ; =>This Inner Loop Header: Depth=1
	s_load_dwordx2 s[18:19], s[16:17], 0x0
                                        ; implicit-def: $vgpr8_vgpr9
	s_waitcnt lgkmcnt(0)
	v_or_b32_e32 v5, s19, v7
	v_cmp_ne_u64_e32 vcc, 0, v[4:5]
	s_and_saveexec_b64 s[2:3], vcc
	s_xor_b64 s[20:21], exec, s[2:3]
	s_cbranch_execz .LBB0_4
; %bb.3:                                ;   in Loop: Header=BB0_2 Depth=1
	v_cvt_f32_u32_e32 v1, s18
	v_cvt_f32_u32_e32 v5, s19
	s_sub_u32 s2, 0, s18
	s_subb_u32 s3, 0, s19
	v_fmac_f32_e32 v1, 0x4f800000, v5
	v_rcp_f32_e32 v1, v1
	s_nop 0
	v_mul_f32_e32 v1, 0x5f7ffffc, v1
	v_mul_f32_e32 v5, 0x2f800000, v1
	v_trunc_f32_e32 v5, v5
	v_fmac_f32_e32 v1, 0xcf800000, v5
	v_cvt_u32_f32_e32 v5, v5
	v_cvt_u32_f32_e32 v1, v1
	v_mul_lo_u32 v8, s2, v5
	v_mul_hi_u32 v10, s2, v1
	v_mul_lo_u32 v9, s3, v1
	v_add_u32_e32 v10, v10, v8
	v_mul_lo_u32 v12, s2, v1
	v_add_u32_e32 v13, v10, v9
	v_mul_hi_u32 v8, v1, v12
	v_mul_hi_u32 v11, v1, v13
	v_mul_lo_u32 v10, v1, v13
	v_mov_b32_e32 v9, v4
	v_lshl_add_u64 v[8:9], v[8:9], 0, v[10:11]
	v_mul_hi_u32 v11, v5, v12
	v_mul_lo_u32 v12, v5, v12
	v_add_co_u32_e32 v8, vcc, v8, v12
	v_mul_hi_u32 v10, v5, v13
	s_nop 0
	v_addc_co_u32_e32 v8, vcc, v9, v11, vcc
	v_mov_b32_e32 v9, v4
	s_nop 0
	v_addc_co_u32_e32 v11, vcc, 0, v10, vcc
	v_mul_lo_u32 v10, v5, v13
	v_lshl_add_u64 v[8:9], v[8:9], 0, v[10:11]
	v_add_co_u32_e32 v1, vcc, v1, v8
	v_mul_lo_u32 v10, s2, v1
	s_nop 0
	v_addc_co_u32_e32 v5, vcc, v5, v9, vcc
	v_mul_lo_u32 v8, s2, v5
	v_mul_hi_u32 v9, s2, v1
	v_add_u32_e32 v8, v9, v8
	v_mul_lo_u32 v9, s3, v1
	v_add_u32_e32 v12, v8, v9
	v_mul_hi_u32 v14, v5, v10
	v_mul_lo_u32 v15, v5, v10
	v_mul_hi_u32 v9, v1, v12
	v_mul_lo_u32 v8, v1, v12
	v_mul_hi_u32 v10, v1, v10
	v_mov_b32_e32 v11, v4
	v_lshl_add_u64 v[8:9], v[10:11], 0, v[8:9]
	v_add_co_u32_e32 v8, vcc, v8, v15
	v_mul_hi_u32 v13, v5, v12
	s_nop 0
	v_addc_co_u32_e32 v8, vcc, v9, v14, vcc
	v_mul_lo_u32 v10, v5, v12
	s_nop 0
	v_addc_co_u32_e32 v11, vcc, 0, v13, vcc
	v_mov_b32_e32 v9, v4
	v_lshl_add_u64 v[8:9], v[8:9], 0, v[10:11]
	v_add_co_u32_e32 v1, vcc, v1, v8
	v_mul_hi_u32 v10, v6, v1
	s_nop 0
	v_addc_co_u32_e32 v5, vcc, v5, v9, vcc
	v_mad_u64_u32 v[8:9], s[2:3], v6, v5, 0
	v_mov_b32_e32 v11, v4
	v_lshl_add_u64 v[8:9], v[10:11], 0, v[8:9]
	v_mad_u64_u32 v[12:13], s[2:3], v7, v1, 0
	v_add_co_u32_e32 v1, vcc, v8, v12
	v_mad_u64_u32 v[10:11], s[2:3], v7, v5, 0
	s_nop 0
	v_addc_co_u32_e32 v8, vcc, v9, v13, vcc
	v_mov_b32_e32 v9, v4
	s_nop 0
	v_addc_co_u32_e32 v11, vcc, 0, v11, vcc
	v_lshl_add_u64 v[8:9], v[8:9], 0, v[10:11]
	v_mul_lo_u32 v1, s19, v8
	v_mul_lo_u32 v5, s18, v9
	v_mad_u64_u32 v[10:11], s[2:3], s18, v8, 0
	v_add3_u32 v1, v11, v5, v1
	v_sub_u32_e32 v5, v7, v1
	v_mov_b32_e32 v11, s19
	v_sub_co_u32_e32 v14, vcc, v6, v10
	v_lshl_add_u64 v[12:13], v[8:9], 0, 1
	s_nop 0
	v_subb_co_u32_e64 v5, s[2:3], v5, v11, vcc
	v_subrev_co_u32_e64 v10, s[2:3], s18, v14
	v_subb_co_u32_e32 v1, vcc, v7, v1, vcc
	s_nop 0
	v_subbrev_co_u32_e64 v5, s[2:3], 0, v5, s[2:3]
	v_cmp_le_u32_e64 s[2:3], s19, v5
	v_cmp_le_u32_e32 vcc, s19, v1
	s_nop 0
	v_cndmask_b32_e64 v11, 0, -1, s[2:3]
	v_cmp_le_u32_e64 s[2:3], s18, v10
	s_nop 1
	v_cndmask_b32_e64 v10, 0, -1, s[2:3]
	v_cmp_eq_u32_e64 s[2:3], s19, v5
	s_nop 1
	v_cndmask_b32_e64 v5, v11, v10, s[2:3]
	v_lshl_add_u64 v[10:11], v[8:9], 0, 2
	v_cmp_ne_u32_e64 s[2:3], 0, v5
	s_nop 1
	v_cndmask_b32_e64 v5, v13, v11, s[2:3]
	v_cndmask_b32_e64 v11, 0, -1, vcc
	v_cmp_le_u32_e32 vcc, s18, v14
	s_nop 1
	v_cndmask_b32_e64 v13, 0, -1, vcc
	v_cmp_eq_u32_e32 vcc, s19, v1
	s_nop 1
	v_cndmask_b32_e32 v1, v11, v13, vcc
	v_cmp_ne_u32_e32 vcc, 0, v1
	v_cndmask_b32_e64 v1, v12, v10, s[2:3]
	s_nop 0
	v_cndmask_b32_e32 v9, v9, v5, vcc
	v_cndmask_b32_e32 v8, v8, v1, vcc
.LBB0_4:                                ;   in Loop: Header=BB0_2 Depth=1
	s_andn2_saveexec_b64 s[2:3], s[20:21]
	s_cbranch_execz .LBB0_6
; %bb.5:                                ;   in Loop: Header=BB0_2 Depth=1
	v_cvt_f32_u32_e32 v1, s18
	s_sub_i32 s20, 0, s18
	v_rcp_iflag_f32_e32 v1, v1
	s_nop 0
	v_mul_f32_e32 v1, 0x4f7ffffe, v1
	v_cvt_u32_f32_e32 v1, v1
	v_mul_lo_u32 v5, s20, v1
	v_mul_hi_u32 v5, v1, v5
	v_add_u32_e32 v1, v1, v5
	v_mul_hi_u32 v1, v6, v1
	v_mul_lo_u32 v5, v1, s18
	v_sub_u32_e32 v5, v6, v5
	v_add_u32_e32 v8, 1, v1
	v_subrev_u32_e32 v9, s18, v5
	v_cmp_le_u32_e32 vcc, s18, v5
	s_nop 1
	v_cndmask_b32_e32 v5, v5, v9, vcc
	v_cndmask_b32_e32 v1, v1, v8, vcc
	v_add_u32_e32 v8, 1, v1
	v_cmp_le_u32_e32 vcc, s18, v5
	v_mov_b32_e32 v9, v4
	s_nop 0
	v_cndmask_b32_e32 v8, v1, v8, vcc
.LBB0_6:                                ;   in Loop: Header=BB0_2 Depth=1
	s_or_b64 exec, exec, s[2:3]
	v_mad_u64_u32 v[10:11], s[2:3], v8, s18, 0
	s_load_dwordx2 s[2:3], s[12:13], 0x0
	v_mul_lo_u32 v1, v9, s18
	v_mul_lo_u32 v5, v8, s19
	v_add3_u32 v1, v11, v5, v1
	v_sub_co_u32_e32 v5, vcc, v6, v10
	s_add_u32 s14, s14, 1
	s_nop 0
	v_subb_co_u32_e32 v1, vcc, v7, v1, vcc
	s_addc_u32 s15, s15, 0
	s_waitcnt lgkmcnt(0)
	v_mul_lo_u32 v1, s2, v1
	v_mul_lo_u32 v6, s3, v5
	v_mad_u64_u32 v[2:3], s[2:3], s2, v5, v[2:3]
	s_add_u32 s12, s12, 8
	v_add3_u32 v3, v6, v3, v1
	s_addc_u32 s13, s13, 0
	v_mov_b64_e32 v[6:7], s[6:7]
	s_add_u32 s16, s16, 8
	v_cmp_ge_u64_e32 vcc, s[14:15], v[6:7]
	s_addc_u32 s17, s17, 0
	s_cbranch_vccnz .LBB0_9
; %bb.7:                                ;   in Loop: Header=BB0_2 Depth=1
	v_mov_b64_e32 v[6:7], v[8:9]
	s_branch .LBB0_2
.LBB0_8:
	v_mov_b64_e32 v[8:9], v[6:7]
.LBB0_9:
	s_lshl_b64 s[2:3], s[6:7], 3
	s_add_u32 s2, s10, s2
	s_addc_u32 s3, s11, s3
	s_load_dwordx2 s[6:7], s[2:3], 0x0
	s_load_dwordx2 s[10:11], s[0:1], 0x20
	s_mov_b32 s2, 0x25ed098
	v_mov_b32_e32 v96, 0
                                        ; implicit-def: $vgpr88_vgpr89
                                        ; implicit-def: $vgpr28_vgpr29
                                        ; implicit-def: $vgpr10_vgpr11
                                        ; implicit-def: $vgpr20_vgpr21
                                        ; implicit-def: $vgpr36_vgpr37
                                        ; implicit-def: $vgpr32_vgpr33
                                        ; implicit-def: $vgpr40_vgpr41
                                        ; implicit-def: $vgpr68_vgpr69
                                        ; implicit-def: $vgpr48_vgpr49
                                        ; implicit-def: $vgpr60_vgpr61
                                        ; implicit-def: $vgpr76_vgpr77
                                        ; implicit-def: $vgpr92_vgpr93
                                        ; implicit-def: $vgpr84_vgpr85
                                        ; implicit-def: $vgpr6_vgpr7
                                        ; implicit-def: $vgpr24_vgpr25
                                        ; implicit-def: $vgpr44_vgpr45
                                        ; implicit-def: $vgpr16_vgpr17
	s_waitcnt lgkmcnt(0)
	v_mul_lo_u32 v1, s6, v9
	v_mul_lo_u32 v4, s7, v8
	v_mad_u64_u32 v[2:3], s[0:1], s6, v8, v[2:3]
	v_add3_u32 v3, v4, v3, v1
	v_mul_hi_u32 v1, v0, s2
	v_mul_u32_u24_e32 v1, 0x6c, v1
	v_cmp_gt_u64_e64 s[0:1], s[10:11], v[8:9]
	v_sub_u32_e32 v98, v0, v1
	v_lshl_add_u64 v[94:95], v[2:3], 4, s[8:9]
                                        ; implicit-def: $vgpr2_vgpr3
	s_and_saveexec_b64 s[2:3], s[0:1]
	s_cbranch_execz .LBB0_13
; %bb.10:
	v_mov_b32_e32 v99, 0
	v_lshl_add_u64 v[12:13], v[98:99], 4, v[94:95]
	v_add_co_u32_e32 v4, vcc, 0x2000, v12
	v_or_b32_e32 v0, 0x480, v98
	v_mov_b32_e32 v1, v99
	v_addc_co_u32_e32 v5, vcc, 0, v13, vcc
	v_lshl_add_u64 v[0:1], v[0:1], 4, v[94:95]
	s_movk_i32 s6, 0x4000
	global_load_dwordx4 v[14:17], v[12:13], off
	global_load_dwordx4 v[8:11], v[12:13], off offset:1728
	global_load_dwordx4 v[26:29], v[0:1], off
	global_load_dwordx4 v[18:21], v[4:5], off offset:2752
	v_add_co_u32_e32 v0, vcc, s6, v12
	s_movk_i32 s6, 0x3000
	s_nop 0
	v_addc_co_u32_e32 v1, vcc, 0, v13, vcc
	v_add_co_u32_e32 v6, vcc, s6, v12
	s_movk_i32 s6, 0x5000
	s_nop 0
	v_addc_co_u32_e32 v7, vcc, 0, v13, vcc
	;; [unrolled: 4-line block ×3, first 2 shown]
	v_add_co_u32_e32 v44, vcc, s6, v12
	global_load_dwordx4 v[34:37], v[0:1], off offset:3776
	global_load_dwordx4 v[30:33], v[6:7], off offset:384
	v_addc_co_u32_e32 v45, vcc, 0, v13, vcc
	global_load_dwordx4 v[38:41], v[42:43], off offset:1408
	global_load_dwordx4 v[46:49], v[42:43], off offset:3136
	;; [unrolled: 1-line block ×6, first 2 shown]
	v_add_co_u32_e32 v6, vcc, 0x6000, v12
                                        ; implicit-def: $vgpr82_vgpr83
                                        ; implicit-def: $vgpr90_vgpr91
	s_nop 1
	v_addc_co_u32_e32 v7, vcc, 0, v13, vcc
	global_load_dwordx4 v[74:77], v[6:7], off offset:768
	global_load_dwordx4 v[86:89], v[4:5], off offset:1024
	;; [unrolled: 1-line block ×3, first 2 shown]
	v_cmp_gt_u32_e32 vcc, 36, v98
                                        ; implicit-def: $vgpr4_vgpr5
	s_and_saveexec_b64 s[6:7], vcc
	s_cbranch_execz .LBB0_12
; %bb.11:
	v_add_co_u32_e32 v50, vcc, 0x2000, v12
	s_nop 1
	v_addc_co_u32_e32 v51, vcc, 0, v13, vcc
	v_add_co_u32_e32 v52, vcc, 0x4000, v12
	s_nop 1
	v_addc_co_u32_e32 v53, vcc, 0, v13, vcc
	v_add_co_u32_e32 v12, vcc, 0x6000, v12
	global_load_dwordx4 v[4:7], v[50:51], off offset:448
	global_load_dwordx4 v[82:85], v[52:53], off offset:1472
	v_addc_co_u32_e32 v13, vcc, 0, v13, vcc
	global_load_dwordx4 v[90:93], v[12:13], off offset:2496
.LBB0_12:
	s_or_b64 exec, exec, s[6:7]
	v_mov_b32_e32 v96, v98
.LBB0_13:
	s_or_b64 exec, exec, s[2:3]
	s_waitcnt vmcnt(10)
	v_add_f64 v[50:51], v[18:19], v[34:35]
	s_mov_b32 s2, 0xe8584caa
	v_add_f64 v[12:13], v[8:9], v[18:19]
	v_fmac_f64_e32 v[8:9], -0.5, v[50:51]
	s_mov_b32 s3, 0xbfebb67a
	v_mad_u32_u24 v99, v98, 24, 0
	v_add_f64 v[50:51], v[20:21], -v[36:37]
	v_add_f64 v[12:13], v[12:13], v[34:35]
	v_add_u32_e32 v54, 0xa20, v99
	v_fma_f64 v[52:53], s[2:3], v[50:51], v[8:9]
	ds_write2_b64 v54, v[12:13], v[52:53] offset1:1
	s_waitcnt vmcnt(8)
	v_add_f64 v[52:53], v[30:31], v[38:39]
	s_waitcnt vmcnt(0)
	v_add_f64 v[12:13], v[30:31], v[42:43]
	v_fmac_f64_e32 v[42:43], -0.5, v[52:53]
	v_add_f64 v[52:53], v[32:33], -v[40:41]
	v_add_f64 v[12:13], v[38:39], v[12:13]
	v_add_u32_e32 v56, 0x1440, v99
	v_fma_f64 v[54:55], s[2:3], v[52:53], v[42:43]
	ds_write2_b64 v56, v[12:13], v[54:55] offset1:1
	v_add_f64 v[54:55], v[66:67], v[46:47]
	v_add_f64 v[12:13], v[66:67], v[22:23]
	v_fmac_f64_e32 v[22:23], -0.5, v[54:55]
	v_add_f64 v[54:55], v[68:69], -v[48:49]
	v_add_f64 v[12:13], v[46:47], v[12:13]
	v_add_u32_e32 v62, 0x1e60, v99
	v_fma_f64 v[56:57], s[2:3], v[54:55], v[22:23]
	ds_write2_b64 v62, v[12:13], v[56:57] offset1:1
	v_add_f64 v[56:57], v[86:87], v[26:27]
	v_add_f64 v[12:13], v[86:87], v[14:15]
	v_fmac_f64_e32 v[14:15], -0.5, v[56:57]
	v_add_f64 v[56:57], v[88:89], -v[28:29]
	s_mov_b32 s7, 0x3febb67a
	s_mov_b32 s6, s2
	v_add_f64 v[12:13], v[26:27], v[12:13]
	v_fma_f64 v[62:63], s[2:3], v[56:57], v[14:15]
	v_fmac_f64_e32 v[8:9], s[6:7], v[50:51]
	v_add_f64 v[50:51], v[58:59], v[74:75]
	ds_write2_b64 v99, v[12:13], v[62:63] offset1:1
	v_fmac_f64_e32 v[42:43], s[6:7], v[52:53]
	v_add_f64 v[12:13], v[0:1], v[58:59]
	v_fmac_f64_e32 v[0:1], -0.5, v[50:51]
	v_add_f64 v[50:51], v[60:61], -v[76:77]
	v_add_f64 v[52:53], v[90:91], v[82:83]
	v_fma_f64 v[102:103], s[2:3], v[50:51], v[0:1]
	v_fmac_f64_e32 v[0:1], s[6:7], v[50:51]
	v_add_f64 v[50:51], v[82:83], v[4:5]
	v_fmac_f64_e32 v[4:5], -0.5, v[52:53]
	v_add_f64 v[52:53], v[84:85], -v[92:93]
	v_fmac_f64_e32 v[14:15], s[6:7], v[56:57]
	v_fma_f64 v[104:105], s[2:3], v[52:53], v[4:5]
	v_fmac_f64_e32 v[4:5], s[6:7], v[52:53]
	v_add_f64 v[100:101], v[12:13], v[74:75]
	v_add_u32_e32 v12, 0x2880, v99
	v_add_f64 v[106:107], v[90:91], v[50:51]
	v_cmp_gt_u32_e64 s[2:3], 36, v98
	v_fmac_f64_e32 v[22:23], s[6:7], v[54:55]
	ds_write2_b64 v12, v[100:101], v[102:103] offset1:1
	ds_write_b64 v99, v[14:15] offset:16
	ds_write_b64 v99, v[8:9] offset:2608
	;; [unrolled: 1-line block ×5, first 2 shown]
	s_and_saveexec_b64 s[6:7], s[2:3]
	s_cbranch_execz .LBB0_15
; %bb.14:
	v_add_u32_e32 v8, 0x32a0, v99
	ds_write2_b64 v8, v[106:107], v[104:105] offset1:1
	ds_write_b64 v99, v[4:5] offset:12976
.LBB0_15:
	s_or_b64 exec, exec, s[6:7]
	v_lshlrev_b32_e32 v8, 4, v98
	v_sub_u32_e32 v97, v99, v8
	v_add_u32_e32 v8, 0x800, v97
	s_waitcnt lgkmcnt(0)
	s_barrier
	ds_read2_b64 v[78:81], v8 offset0:32 offset1:140
	v_add_u32_e32 v8, 0x1000, v97
	ds_read2_b64 v[70:73], v8 offset0:64 offset1:172
	v_add_u32_e32 v8, 0x1800, v97
	;; [unrolled: 2-line block ×4, first 2 shown]
	ds_read2_b64 v[12:15], v97 offset1:108
	ds_read2_b64 v[50:53], v8 offset0:32 offset1:140
	s_movk_i32 s6, 0x48
	v_cmp_gt_u32_e32 vcc, s6, v98
	s_and_saveexec_b64 s[6:7], vcc
	s_cbranch_execz .LBB0_17
; %bb.16:
	ds_read_b64 v[100:101], v97 offset:1728
	ds_read_b64 v[102:103], v97 offset:4032
	;; [unrolled: 1-line block ×6, first 2 shown]
.LBB0_17:
	s_or_b64 exec, exec, s[6:7]
	v_add_f64 v[22:23], v[88:89], v[28:29]
	s_mov_b32 s6, 0xe8584caa
	v_add_f64 v[8:9], v[88:89], v[16:17]
	v_fmac_f64_e32 v[16:17], -0.5, v[22:23]
	v_add_f64 v[22:23], v[86:87], -v[26:27]
	s_mov_b32 s7, 0x3febb67a
	s_mov_b32 s9, 0xbfebb67a
	;; [unrolled: 1-line block ×3, first 2 shown]
	v_fma_f64 v[26:27], s[6:7], v[22:23], v[16:17]
	v_fmac_f64_e32 v[16:17], s[8:9], v[22:23]
	v_add_f64 v[22:23], v[10:11], v[20:21]
	v_add_f64 v[20:21], v[20:21], v[36:37]
	;; [unrolled: 1-line block ×3, first 2 shown]
	v_fmac_f64_e32 v[10:11], -0.5, v[20:21]
	v_add_f64 v[18:19], v[18:19], -v[34:35]
	v_add_f64 v[28:29], v[32:33], v[40:41]
	v_fma_f64 v[20:21], s[6:7], v[18:19], v[10:11]
	v_fmac_f64_e32 v[10:11], s[8:9], v[18:19]
	v_add_f64 v[18:19], v[32:33], v[44:45]
	v_fmac_f64_e32 v[44:45], -0.5, v[28:29]
	v_add_f64 v[28:29], v[30:31], -v[38:39]
	v_add_f64 v[32:33], v[68:69], v[48:49]
	v_fma_f64 v[30:31], s[6:7], v[28:29], v[44:45]
	v_fmac_f64_e32 v[44:45], s[8:9], v[28:29]
	v_add_f64 v[28:29], v[68:69], v[24:25]
	v_fmac_f64_e32 v[24:25], -0.5, v[32:33]
	v_add_f64 v[32:33], v[66:67], -v[46:47]
	v_fma_f64 v[34:35], s[6:7], v[32:33], v[24:25]
	v_fmac_f64_e32 v[24:25], s[8:9], v[32:33]
	v_add_f64 v[32:33], v[2:3], v[60:61]
	v_add_f64 v[22:23], v[22:23], v[36:37]
	v_add_f64 v[36:37], v[32:33], v[76:77]
	v_add_f64 v[32:33], v[60:61], v[76:77]
	v_fmac_f64_e32 v[2:3], -0.5, v[32:33]
	v_add_f64 v[32:33], v[58:59], -v[74:75]
	v_fma_f64 v[38:39], s[6:7], v[32:33], v[2:3]
	v_fmac_f64_e32 v[2:3], s[8:9], v[32:33]
	v_add_f64 v[32:33], v[84:85], v[6:7]
	s_waitcnt lgkmcnt(0)
	s_barrier
	ds_write2_b64 v99, v[8:9], v[26:27] offset1:1
	ds_write_b64 v99, v[16:17] offset:16
	v_add_u32_e32 v8, 0xa20, v99
	v_add_f64 v[18:19], v[40:41], v[18:19]
	v_add_f64 v[40:41], v[92:93], v[32:33]
	;; [unrolled: 1-line block ×3, first 2 shown]
	ds_write2_b64 v8, v[22:23], v[20:21] offset1:1
	ds_write_b64 v99, v[10:11] offset:2608
	v_add_u32_e32 v8, 0x1440, v99
	v_add_f64 v[28:29], v[48:49], v[28:29]
	v_fmac_f64_e32 v[6:7], -0.5, v[32:33]
	v_add_f64 v[32:33], v[82:83], -v[90:91]
	ds_write2_b64 v8, v[18:19], v[30:31] offset1:1
	ds_write_b64 v99, v[44:45] offset:5200
	v_add_u32_e32 v8, 0x1e60, v99
	v_fma_f64 v[42:43], s[6:7], v[32:33], v[6:7]
	v_fmac_f64_e32 v[6:7], s[8:9], v[32:33]
	ds_write2_b64 v8, v[28:29], v[34:35] offset1:1
	ds_write_b64 v99, v[24:25] offset:7792
	v_add_u32_e32 v8, 0x2880, v99
	ds_write2_b64 v8, v[36:37], v[38:39] offset1:1
	ds_write_b64 v99, v[2:3] offset:10384
	s_and_saveexec_b64 s[6:7], s[2:3]
	s_cbranch_execz .LBB0_19
; %bb.18:
	v_add_u32_e32 v8, 0x32a0, v99
	ds_write2_b64 v8, v[40:41], v[42:43] offset1:1
	ds_write_b64 v99, v[6:7] offset:12976
.LBB0_19:
	s_or_b64 exec, exec, s[6:7]
	v_add_u32_e32 v16, 0x800, v97
	s_waitcnt lgkmcnt(0)
	s_barrier
	ds_read2_b64 v[32:35], v16 offset0:32 offset1:140
	v_add_u32_e32 v16, 0x1000, v97
	ds_read2_b64 v[28:31], v16 offset0:64 offset1:172
	v_add_u32_e32 v16, 0x1800, v97
	;; [unrolled: 2-line block ×4, first 2 shown]
	ds_read2_b64 v[8:11], v97 offset1:108
	ds_read2_b64 v[16:19], v16 offset0:32 offset1:140
	s_and_saveexec_b64 s[2:3], vcc
	s_cbranch_execz .LBB0_21
; %bb.20:
	ds_read_b64 v[36:37], v97 offset:1728
	ds_read_b64 v[38:39], v97 offset:4032
	;; [unrolled: 1-line block ×6, first 2 shown]
.LBB0_21:
	s_or_b64 exec, exec, s[2:3]
	s_movk_i32 s2, 0xab
	v_add_u16_e32 v116, 0x6c, v98
	v_mul_lo_u16_sdwa v44, v98, s2 dst_sel:DWORD dst_unused:UNUSED_PAD src0_sel:BYTE_0 src1_sel:DWORD
	v_mul_lo_u16_sdwa v46, v116, s2 dst_sel:DWORD dst_unused:UNUSED_PAD src0_sel:BYTE_0 src1_sel:DWORD
	v_lshrrev_b16_e32 v99, 9, v44
	v_lshrrev_b16_e32 v159, 9, v46
	v_mul_lo_u16_e32 v44, 3, v99
	v_mul_lo_u16_e32 v46, 3, v159
	v_sub_u16_e32 v158, v98, v44
	v_mov_b32_e32 v44, 5
	v_sub_u16_e32 v160, v116, v46
	v_add_u32_e32 v117, 0xd8, v98
	s_mov_b32 s2, 0xaaab
	v_mul_u32_u24_sdwa v45, v158, v44 dst_sel:DWORD dst_unused:UNUSED_PAD src0_sel:BYTE_0 src1_sel:DWORD
	v_mul_u32_u24_sdwa v44, v160, v44 dst_sel:DWORD dst_unused:UNUSED_PAD src0_sel:BYTE_0 src1_sel:DWORD
	v_mul_u32_u24_sdwa v46, v117, s2 dst_sel:DWORD dst_unused:UNUSED_PAD src0_sel:WORD_0 src1_sel:DWORD
	v_lshlrev_b32_e32 v45, 4, v45
	v_lshlrev_b32_e32 v44, 4, v44
	v_lshrrev_b32_e32 v161, 17, v46
	global_load_dwordx4 v[58:61], v45, s[4:5]
	global_load_dwordx4 v[66:69], v44, s[4:5]
	global_load_dwordx4 v[86:89], v45, s[4:5] offset:16
	global_load_dwordx4 v[90:93], v44, s[4:5] offset:16
	;; [unrolled: 1-line block ×7, first 2 shown]
	v_mul_lo_u16_e32 v45, 3, v161
	v_sub_u16_e32 v162, v117, v45
	v_mul_u32_u24_e32 v45, 5, v162
	global_load_dwordx4 v[130:133], v44, s[4:5] offset:64
	v_lshlrev_b32_e32 v44, 4, v45
	global_load_dwordx4 v[134:137], v44, s[4:5]
	global_load_dwordx4 v[138:141], v44, s[4:5] offset:16
	global_load_dwordx4 v[142:145], v44, s[4:5] offset:32
	;; [unrolled: 1-line block ×4, first 2 shown]
	s_mov_b32 s2, 0xe8584caa
	s_mov_b32 s3, 0xbfebb67a
	;; [unrolled: 1-line block ×4, first 2 shown]
	s_waitcnt lgkmcnt(0)
	s_barrier
	s_waitcnt vmcnt(13)
	v_mul_f64 v[44:45], v[34:35], v[68:69]
	v_mul_f64 v[68:69], v[80:81], v[68:69]
	s_waitcnt vmcnt(12)
	v_mul_f64 v[82:83], v[28:29], v[88:89]
	v_mul_f64 v[88:89], v[70:71], v[88:89]
	;; [unrolled: 1-line block ×4, first 2 shown]
	v_fma_f64 v[74:75], v[34:35], v[66:67], -v[68:69]
	s_waitcnt vmcnt(8)
	v_mul_f64 v[84:85], v[20:21], v[120:121]
	v_fma_f64 v[76:77], v[32:33], v[58:59], -v[60:61]
	s_waitcnt vmcnt(3)
	v_mul_f64 v[34:35], v[2:3], v[140:141]
	v_mul_f64 v[60:61], v[16:17], v[124:125]
	v_fmac_f64_e32 v[44:45], v[80:81], v[66:67]
	v_mul_f64 v[66:67], v[18:19], v[132:133]
	v_fma_f64 v[80:81], v[28:29], v[86:87], -v[88:89]
	v_mul_f64 v[28:29], v[0:1], v[140:141]
	v_fmac_f64_e32 v[34:35], v[0:1], v[138:139]
	s_waitcnt vmcnt(1)
	v_mul_f64 v[0:1], v[104:105], v[148:149]
	v_mul_f64 v[46:47], v[30:31], v[92:93]
	;; [unrolled: 1-line block ×6, first 2 shown]
	v_fmac_f64_e32 v[82:83], v[70:71], v[86:87]
	v_fmac_f64_e32 v[84:85], v[54:55], v[118:119]
	;; [unrolled: 1-line block ×4, first 2 shown]
	v_fma_f64 v[50:51], v[2:3], v[138:139], -v[28:29]
	v_mul_f64 v[52:53], v[42:43], v[148:149]
	v_fma_f64 v[42:43], v[42:43], v[146:147], -v[0:1]
	s_waitcnt vmcnt(0)
	v_mul_f64 v[0:1], v[6:7], v[152:153]
	v_mul_f64 v[2:3], v[4:5], v[152:153]
	;; [unrolled: 1-line block ×3, first 2 shown]
	v_fmac_f64_e32 v[48:49], v[78:79], v[58:59]
	v_fmac_f64_e32 v[46:47], v[72:73], v[90:91]
	v_fma_f64 v[78:79], v[30:31], v[90:91], -v[92:93]
	v_fma_f64 v[90:91], v[20:21], v[118:119], -v[120:121]
	v_fmac_f64_e32 v[0:1], v[4:5], v[150:151]
	v_fma_f64 v[4:5], v[6:7], v[150:151], -v[2:3]
	v_add_f64 v[6:7], v[82:83], v[84:85]
	v_fmac_f64_e32 v[154:155], v[62:63], v[108:109]
	v_add_f64 v[2:3], v[12:13], v[82:83]
	v_fma_f64 v[12:13], -0.5, v[6:7], v[12:13]
	v_add_f64 v[6:7], v[80:81], -v[90:91]
	v_mul_f64 v[110:111], v[62:63], v[110:111]
	v_fma_f64 v[88:89], v[16:17], v[122:123], -v[124:125]
	v_fma_f64 v[16:17], s[2:3], v[6:7], v[12:13]
	v_fmac_f64_e32 v[12:13], s[6:7], v[6:7]
	v_add_f64 v[6:7], v[48:49], v[154:155]
	v_fma_f64 v[86:87], v[24:25], v[108:109], -v[110:111]
	v_fma_f64 v[54:55], v[18:19], v[130:131], -v[68:69]
	v_add_f64 v[18:19], v[6:7], v[60:61]
	v_add_f64 v[6:7], v[154:155], v[60:61]
	v_fmac_f64_e32 v[48:49], -0.5, v[6:7]
	v_add_f64 v[20:21], v[86:87], -v[88:89]
	v_fma_f64 v[6:7], s[2:3], v[20:21], v[48:49]
	v_fmac_f64_e32 v[48:49], s[6:7], v[20:21]
	v_add_f64 v[20:21], v[86:87], v[88:89]
	v_mul_f64 v[32:33], v[38:39], v[136:137]
	v_fma_f64 v[92:93], -0.5, v[20:21], v[76:77]
	v_add_f64 v[20:21], v[154:155], -v[60:61]
	v_mul_f64 v[58:59], v[22:23], v[128:129]
	v_mul_f64 v[128:129], v[56:57], v[128:129]
	v_mul_f64 v[132:133], v[102:103], v[136:137]
	v_fmac_f64_e32 v[32:33], v[102:103], v[134:135]
	v_fma_f64 v[102:103], s[6:7], v[20:21], v[92:93]
	v_fmac_f64_e32 v[58:59], v[56:57], v[126:127]
	v_fma_f64 v[56:57], v[22:23], v[126:127], -v[128:129]
	v_mul_f64 v[22:23], v[102:103], s[2:3]
	v_mul_f64 v[156:157], v[26:27], v[114:115]
	;; [unrolled: 1-line block ×3, first 2 shown]
	v_fmac_f64_e32 v[92:93], s[2:3], v[20:21]
	v_fmac_f64_e32 v[22:23], 0.5, v[6:7]
	v_fmac_f64_e32 v[156:157], v[64:65], v[112:113]
	v_fma_f64 v[62:63], v[26:27], v[112:113], -v[114:115]
	v_add_f64 v[2:3], v[2:3], v[84:85]
	v_add_f64 v[24:25], v[16:17], v[22:23]
	v_mul_f64 v[26:27], v[92:93], s[2:3]
	v_add_f64 v[16:17], v[16:17], -v[22:23]
	v_add_f64 v[22:23], v[46:47], v[58:59]
	v_add_f64 v[20:21], v[2:3], v[18:19]
	v_fmac_f64_e32 v[26:27], -0.5, v[48:49]
	v_add_f64 v[2:3], v[2:3], -v[18:19]
	v_add_f64 v[18:19], v[14:15], v[46:47]
	v_fmac_f64_e32 v[14:15], -0.5, v[22:23]
	v_add_f64 v[22:23], v[78:79], -v[56:57]
	v_add_f64 v[30:31], v[156:157], v[66:67]
	v_add_f64 v[28:29], v[12:13], v[26:27]
	v_add_f64 v[12:13], v[12:13], -v[26:27]
	v_fma_f64 v[26:27], s[2:3], v[22:23], v[14:15]
	v_fmac_f64_e32 v[14:15], s[6:7], v[22:23]
	v_add_f64 v[22:23], v[44:45], v[156:157]
	v_fmac_f64_e32 v[44:45], -0.5, v[30:31]
	v_add_f64 v[30:31], v[62:63], -v[54:55]
	v_mul_f64 v[70:71], v[40:41], v[144:145]
	v_fmac_f64_e32 v[52:53], v[104:105], v[146:147]
	v_fma_f64 v[104:105], s[2:3], v[30:31], v[44:45]
	v_fmac_f64_e32 v[44:45], s[6:7], v[30:31]
	v_add_f64 v[30:31], v[62:63], v[54:55]
	v_mul_f64 v[72:73], v[106:107], v[144:145]
	v_fmac_f64_e32 v[70:71], v[106:107], v[142:143]
	v_fma_f64 v[106:107], -0.5, v[30:31], v[74:75]
	v_add_f64 v[30:31], v[156:157], -v[66:67]
	v_fma_f64 v[108:109], s[6:7], v[30:31], v[106:107]
	v_mul_f64 v[60:61], v[108:109], s[2:3]
	v_add_f64 v[18:19], v[18:19], v[58:59]
	v_add_f64 v[22:23], v[22:23], v[66:67]
	v_fmac_f64_e32 v[106:107], s[2:3], v[30:31]
	v_fmac_f64_e32 v[60:61], 0.5, v[104:105]
	v_add_f64 v[30:31], v[18:19], v[22:23]
	v_add_f64 v[120:121], v[26:27], v[60:61]
	v_mul_f64 v[64:65], v[106:107], s[2:3]
	v_add_f64 v[18:19], v[18:19], -v[22:23]
	v_add_f64 v[22:23], v[26:27], -v[60:61]
	v_add_f64 v[60:61], v[34:35], v[52:53]
	v_fmac_f64_e32 v[64:65], -0.5, v[44:45]
	v_add_f64 v[26:27], v[100:101], v[34:35]
	v_fmac_f64_e32 v[100:101], -0.5, v[60:61]
	v_add_f64 v[60:61], v[50:51], -v[42:43]
	v_add_f64 v[122:123], v[14:15], v[64:65]
	v_add_f64 v[14:15], v[14:15], -v[64:65]
	v_fma_f64 v[64:65], s[2:3], v[60:61], v[100:101]
	v_fmac_f64_e32 v[100:101], s[6:7], v[60:61]
	v_add_f64 v[60:61], v[32:33], v[70:71]
	v_fma_f64 v[40:41], v[40:41], v[142:143], -v[72:73]
	v_add_f64 v[68:69], v[60:61], v[0:1]
	v_add_f64 v[60:61], v[70:71], v[0:1]
	v_fmac_f64_e32 v[32:33], -0.5, v[60:61]
	v_add_f64 v[60:61], v[40:41], -v[4:5]
	v_fma_f64 v[38:39], v[38:39], v[134:135], -v[132:133]
	v_fma_f64 v[110:111], s[2:3], v[60:61], v[32:33]
	v_fmac_f64_e32 v[32:33], s[6:7], v[60:61]
	v_add_f64 v[60:61], v[40:41], v[4:5]
	v_fma_f64 v[112:113], -0.5, v[60:61], v[38:39]
	v_add_f64 v[0:1], v[70:71], -v[0:1]
	v_fma_f64 v[114:115], s[6:7], v[0:1], v[112:113]
	v_fmac_f64_e32 v[112:113], s[2:3], v[0:1]
	v_mul_f64 v[0:1], v[114:115], s[2:3]
	v_add_f64 v[26:27], v[26:27], v[52:53]
	v_fmac_f64_e32 v[0:1], 0.5, v[110:111]
	v_add_f64 v[60:61], v[26:27], v[68:69]
	v_add_f64 v[66:67], v[64:65], v[0:1]
	v_mul_f64 v[118:119], v[112:113], s[2:3]
	v_add_f64 v[70:71], v[26:27], -v[68:69]
	v_add_f64 v[68:69], v[64:65], -v[0:1]
	v_mov_b32_e32 v1, 3
	v_fmac_f64_e32 v[118:119], -0.5, v[32:33]
	v_mul_u32_u24_e32 v0, 0x90, v99
	v_lshlrev_b32_sdwa v26, v1, v158 dst_sel:DWORD dst_unused:UNUSED_PAD src0_sel:DWORD src1_sel:BYTE_0
	v_add_f64 v[72:73], v[100:101], v[118:119]
	v_add_f64 v[64:65], v[100:101], -v[118:119]
	v_add3_u32 v100, 0, v0, v26
	v_mul_u32_u24_e32 v0, 0x90, v159
	v_lshlrev_b32_sdwa v1, v1, v160 dst_sel:DWORD dst_unused:UNUSED_PAD src0_sel:DWORD src1_sel:BYTE_0
	v_add3_u32 v119, 0, v0, v1
	v_mul_lo_u16_e32 v101, 18, v161
	v_lshlrev_b32_e32 v118, 3, v162
	ds_write2_b64 v100, v[20:21], v[24:25] offset1:3
	ds_write2_b64 v100, v[28:29], v[2:3] offset0:6 offset1:9
	ds_write2_b64 v100, v[16:17], v[12:13] offset0:12 offset1:15
	ds_write2_b64 v119, v[30:31], v[120:121] offset1:3
	ds_write2_b64 v119, v[122:123], v[18:19] offset0:6 offset1:9
	ds_write2_b64 v119, v[22:23], v[14:15] offset0:12 offset1:15
	s_and_saveexec_b64 s[2:3], vcc
	s_cbranch_execz .LBB0_23
; %bb.22:
	v_lshlrev_b32_e32 v0, 3, v101
	v_add3_u32 v0, 0, v118, v0
	ds_write2_b64 v0, v[60:61], v[66:67] offset1:3
	ds_write2_b64 v0, v[72:73], v[70:71] offset0:6 offset1:9
	ds_write2_b64 v0, v[68:69], v[64:65] offset0:12 offset1:15
.LBB0_23:
	s_or_b64 exec, exec, s[2:3]
	v_add_u32_e32 v12, 0x800, v97
	s_waitcnt lgkmcnt(0)
	s_barrier
	ds_read2_b64 v[28:31], v12 offset0:32 offset1:140
	v_add_u32_e32 v12, 0x1000, v97
	ds_read2_b64 v[24:27], v12 offset0:64 offset1:172
	v_add_u32_e32 v12, 0x1800, v97
	;; [unrolled: 2-line block ×4, first 2 shown]
	ds_read2_b64 v[0:3], v97 offset1:108
	ds_read2_b64 v[12:15], v12 offset0:32 offset1:140
	v_lshl_add_u32 v99, v98, 3, 0
	s_and_saveexec_b64 s[2:3], vcc
	s_cbranch_execz .LBB0_25
; %bb.24:
	ds_read_b64 v[66:67], v97 offset:4032
	ds_read_b64 v[72:73], v97 offset:6336
	;; [unrolled: 1-line block ×6, first 2 shown]
.LBB0_25:
	s_or_b64 exec, exec, s[2:3]
	v_add_f64 v[120:121], v[8:9], v[80:81]
	v_add_f64 v[76:77], v[76:77], v[86:87]
	v_add_f64 v[120:121], v[120:121], v[90:91]
	v_add_f64 v[80:81], v[80:81], v[90:91]
	v_add_f64 v[76:77], v[76:77], v[88:89]
	v_fma_f64 v[8:9], -0.5, v[80:81], v[8:9]
	v_add_f64 v[80:81], v[82:83], -v[84:85]
	v_add_f64 v[84:85], v[120:121], v[76:77]
	v_add_f64 v[88:89], v[120:121], -v[76:77]
	v_add_f64 v[76:77], v[10:11], v[78:79]
	s_mov_b32 s2, 0xe8584caa
	v_add_f64 v[76:77], v[76:77], v[56:57]
	v_add_f64 v[56:57], v[78:79], v[56:57]
	s_mov_b32 s3, 0x3febb67a
	s_mov_b32 s7, 0xbfebb67a
	;; [unrolled: 1-line block ×3, first 2 shown]
	v_mul_f64 v[86:87], v[92:93], -0.5
	v_fmac_f64_e32 v[10:11], -0.5, v[56:57]
	v_add_f64 v[46:47], v[46:47], -v[58:59]
	v_mul_f64 v[58:59], v[108:109], 0.5
	v_fma_f64 v[82:83], s[2:3], v[80:81], v[8:9]
	v_fmac_f64_e32 v[8:9], s[6:7], v[80:81]
	v_fmac_f64_e32 v[86:87], s[2:3], v[48:49]
	v_fma_f64 v[56:57], s[2:3], v[46:47], v[10:11]
	v_fmac_f64_e32 v[58:59], s[2:3], v[104:105]
	v_add_f64 v[48:49], v[8:9], v[86:87]
	v_add_f64 v[8:9], v[8:9], -v[86:87]
	v_add_f64 v[86:87], v[56:57], v[58:59]
	v_add_f64 v[56:57], v[56:57], -v[58:59]
	v_add_f64 v[58:59], v[36:37], v[50:51]
	v_add_f64 v[58:59], v[58:59], v[42:43]
	;; [unrolled: 1-line block ×3, first 2 shown]
	v_fmac_f64_e32 v[36:37], -0.5, v[42:43]
	v_add_f64 v[34:35], v[34:35], -v[52:53]
	v_fma_f64 v[42:43], s[2:3], v[34:35], v[36:37]
	v_fmac_f64_e32 v[36:37], s[6:7], v[34:35]
	v_add_f64 v[34:35], v[38:39], v[40:41]
	v_mul_f64 v[80:81], v[102:103], 0.5
	v_fmac_f64_e32 v[10:11], s[6:7], v[46:47]
	v_add_f64 v[46:47], v[74:75], v[62:63]
	v_mul_f64 v[62:63], v[106:107], -0.5
	v_add_f64 v[4:5], v[34:35], v[4:5]
	v_mul_f64 v[34:35], v[114:115], 0.5
	v_mul_f64 v[38:39], v[112:113], -0.5
	v_fmac_f64_e32 v[80:81], s[2:3], v[6:7]
	v_add_f64 v[46:47], v[46:47], v[54:55]
	v_fmac_f64_e32 v[62:63], s[2:3], v[44:45]
	v_fmac_f64_e32 v[34:35], s[2:3], v[110:111]
	v_fmac_f64_e32 v[38:39], s[2:3], v[32:33]
	v_add_f64 v[6:7], v[82:83], v[80:81]
	v_add_f64 v[90:91], v[82:83], -v[80:81]
	v_add_f64 v[54:55], v[76:77], v[46:47]
	v_add_f64 v[44:45], v[10:11], v[62:63]
	v_add_f64 v[46:47], v[76:77], -v[46:47]
	v_add_f64 v[10:11], v[10:11], -v[62:63]
	v_add_f64 v[62:63], v[58:59], v[4:5]
	v_add_f64 v[76:77], v[42:43], v[34:35]
	;; [unrolled: 1-line block ×3, first 2 shown]
	v_add_f64 v[82:83], v[58:59], -v[4:5]
	v_add_f64 v[78:79], v[42:43], -v[34:35]
	;; [unrolled: 1-line block ×3, first 2 shown]
	s_waitcnt lgkmcnt(0)
	s_barrier
	ds_write2_b64 v100, v[84:85], v[6:7] offset1:3
	ds_write2_b64 v100, v[48:49], v[88:89] offset0:6 offset1:9
	ds_write2_b64 v100, v[90:91], v[8:9] offset0:12 offset1:15
	ds_write2_b64 v119, v[54:55], v[86:87] offset1:3
	ds_write2_b64 v119, v[44:45], v[46:47] offset0:6 offset1:9
	ds_write2_b64 v119, v[56:57], v[10:11] offset0:12 offset1:15
	s_and_saveexec_b64 s[2:3], vcc
	s_cbranch_execz .LBB0_27
; %bb.26:
	v_lshlrev_b32_e32 v4, 3, v101
	v_add3_u32 v4, 0, v118, v4
	ds_write2_b64 v4, v[62:63], v[76:77] offset1:3
	ds_write2_b64 v4, v[80:81], v[82:83] offset0:6 offset1:9
	ds_write2_b64 v4, v[78:79], v[74:75] offset0:12 offset1:15
.LBB0_27:
	s_or_b64 exec, exec, s[2:3]
	v_add_u32_e32 v8, 0x800, v97
	s_waitcnt lgkmcnt(0)
	s_barrier
	ds_read2_b64 v[44:47], v8 offset0:32 offset1:140
	v_add_u32_e32 v8, 0x1000, v97
	ds_read2_b64 v[40:43], v8 offset0:64 offset1:172
	v_add_u32_e32 v8, 0x1800, v97
	;; [unrolled: 2-line block ×4, first 2 shown]
	ds_read2_b64 v[4:7], v97 offset1:108
	ds_read2_b64 v[8:11], v8 offset0:32 offset1:140
	s_and_saveexec_b64 s[2:3], vcc
	s_cbranch_execz .LBB0_29
; %bb.28:
	ds_read_b64 v[76:77], v97 offset:4032
	ds_read_b64 v[80:81], v97 offset:6336
	;; [unrolled: 1-line block ×6, first 2 shown]
.LBB0_29:
	s_or_b64 exec, exec, s[2:3]
	v_mov_b32_e32 v84, 57
	v_mul_lo_u16_sdwa v48, v98, v84 dst_sel:DWORD dst_unused:UNUSED_PAD src0_sel:BYTE_0 src1_sel:DWORD
	v_mul_lo_u16_sdwa v84, v116, v84 dst_sel:DWORD dst_unused:UNUSED_PAD src0_sel:BYTE_0 src1_sel:DWORD
	v_lshrrev_b16_e32 v89, 10, v48
	v_lshrrev_b16_e32 v157, 10, v84
	v_mul_lo_u16_e32 v48, 18, v89
	v_mul_lo_u16_e32 v84, 18, v157
	v_sub_u16_e32 v156, v98, v48
	v_mov_b32_e32 v85, 5
	v_sub_u16_e32 v158, v116, v84
	s_mov_b32 s2, 0xe38f
	v_mul_u32_u24_sdwa v48, v156, v85 dst_sel:DWORD dst_unused:UNUSED_PAD src0_sel:BYTE_0 src1_sel:DWORD
	v_mul_u32_u24_sdwa v84, v158, v85 dst_sel:DWORD dst_unused:UNUSED_PAD src0_sel:BYTE_0 src1_sel:DWORD
	v_mul_u32_u24_sdwa v85, v117, s2 dst_sel:DWORD dst_unused:UNUSED_PAD src0_sel:WORD_0 src1_sel:DWORD
	v_lshrrev_b32_e32 v88, 20, v85
	v_mul_lo_u16_e32 v85, 18, v88
	v_lshlrev_b32_e32 v86, 4, v48
	v_lshlrev_b32_e32 v84, 4, v84
	v_sub_u16_e32 v159, v117, v85
	global_load_dwordx4 v[48:51], v86, s[4:5] offset:256
	global_load_dwordx4 v[90:93], v86, s[4:5] offset:240
	;; [unrolled: 1-line block ×10, first 2 shown]
	v_mul_u32_u24_e32 v84, 5, v159
	v_lshlrev_b32_e32 v84, 4, v84
	global_load_dwordx4 v[126:129], v84, s[4:5] offset:240
	global_load_dwordx4 v[130:133], v84, s[4:5] offset:256
	;; [unrolled: 1-line block ×5, first 2 shown]
	s_mov_b32 s6, 0xe8584caa
	s_mov_b32 s7, 0xbfebb67a
	;; [unrolled: 1-line block ×4, first 2 shown]
	s_waitcnt lgkmcnt(0)
	s_barrier
	s_waitcnt vmcnt(14)
	v_mul_f64 v[86:87], v[40:41], v[50:51]
	s_waitcnt vmcnt(13)
	v_mul_f64 v[84:85], v[44:45], v[92:93]
	v_mul_f64 v[92:93], v[28:29], v[92:93]
	;; [unrolled: 1-line block ×3, first 2 shown]
	s_waitcnt vmcnt(9)
	v_mul_f64 v[50:51], v[46:47], v[106:107]
	v_mul_f64 v[146:147], v[36:37], v[58:59]
	;; [unrolled: 1-line block ×6, first 2 shown]
	s_waitcnt vmcnt(8)
	v_mul_f64 v[54:55], v[42:43], v[110:111]
	v_mul_f64 v[110:111], v[26:27], v[110:111]
	v_fma_f64 v[44:45], v[44:45], v[90:91], -v[92:93]
	v_fmac_f64_e32 v[86:87], v[24:25], v[48:49]
	s_waitcnt vmcnt(5)
	v_mul_f64 v[92:93], v[10:11], v[124:125]
	v_fmac_f64_e32 v[50:51], v[30:31], v[104:105]
	s_waitcnt vmcnt(0)
	v_mul_f64 v[30:31], v[64:65], v[144:145]
	v_mul_f64 v[152:153], v[8:9], v[102:103]
	v_fmac_f64_e32 v[84:85], v[28:29], v[90:91]
	v_mul_f64 v[28:29], v[34:35], v[120:121]
	v_mul_f64 v[90:91], v[18:19], v[120:121]
	v_fma_f64 v[24:25], v[40:41], v[48:49], -v[116:117]
	v_mul_f64 v[40:41], v[14:15], v[124:125]
	v_fmac_f64_e32 v[146:147], v[20:21], v[56:57]
	v_fma_f64 v[20:21], v[36:37], v[56:57], -v[148:149]
	v_mul_f64 v[56:57], v[66:67], v[128:129]
	v_fmac_f64_e32 v[58:59], v[16:17], v[52:53]
	v_fmac_f64_e32 v[54:55], v[26:27], v[108:109]
	v_fma_f64 v[26:27], v[42:43], v[108:109], -v[110:111]
	v_fmac_f64_e32 v[92:93], v[14:15], v[122:123]
	v_mul_f64 v[14:15], v[68:69], v[140:141]
	v_fma_f64 v[42:43], v[74:75], v[142:143], -v[30:31]
	v_add_f64 v[30:31], v[0:1], v[86:87]
	v_mul_f64 v[102:103], v[12:13], v[102:103]
	v_fma_f64 v[16:17], v[32:33], v[52:53], -v[150:151]
	v_fmac_f64_e32 v[152:153], v[12:13], v[100:101]
	v_fma_f64 v[12:13], v[46:47], v[104:105], -v[106:107]
	v_fmac_f64_e32 v[28:29], v[18:19], v[118:119]
	v_fma_f64 v[18:19], v[34:35], v[118:119], -v[90:91]
	v_fma_f64 v[34:35], v[76:77], v[126:127], -v[56:57]
	;; [unrolled: 1-line block ×3, first 2 shown]
	v_mul_f64 v[14:15], v[74:75], v[144:145]
	v_add_f64 v[56:57], v[30:31], v[58:59]
	v_add_f64 v[30:31], v[86:87], v[58:59]
	v_mul_f64 v[48:49], v[76:77], v[128:129]
	v_fmac_f64_e32 v[14:15], v[64:65], v[142:143]
	v_fma_f64 v[64:65], -0.5, v[30:31], v[0:1]
	v_add_f64 v[0:1], v[24:25], -v[16:17]
	v_mul_f64 v[36:37], v[78:79], v[140:141]
	v_fmac_f64_e32 v[48:49], v[66:67], v[126:127]
	v_fma_f64 v[66:67], s[6:7], v[0:1], v[64:65]
	v_fmac_f64_e32 v[64:65], s[2:3], v[0:1]
	v_add_f64 v[0:1], v[84:85], v[146:147]
	v_fma_f64 v[8:9], v[8:9], v[100:101], -v[102:103]
	v_fmac_f64_e32 v[36:37], v[68:69], v[138:139]
	v_add_f64 v[68:69], v[0:1], v[152:153]
	v_add_f64 v[0:1], v[146:147], v[152:153]
	v_fmac_f64_e32 v[84:85], -0.5, v[0:1]
	v_add_f64 v[30:31], v[20:21], -v[8:9]
	v_mul_f64 v[32:33], v[80:81], v[132:133]
	v_fma_f64 v[0:1], s[6:7], v[30:31], v[84:85]
	v_fmac_f64_e32 v[84:85], s[2:3], v[30:31]
	v_add_f64 v[30:31], v[20:21], v[8:9]
	v_mul_f64 v[116:117], v[72:73], v[132:133]
	v_mul_f64 v[52:53], v[82:83], v[136:137]
	v_fmac_f64_e32 v[32:33], v[72:73], v[130:131]
	v_fma_f64 v[30:31], -0.5, v[30:31], v[44:45]
	v_add_f64 v[72:73], v[146:147], -v[152:153]
	v_mul_f64 v[100:101], v[70:71], v[136:137]
	v_fmac_f64_e32 v[52:53], v[70:71], v[134:135]
	v_fma_f64 v[70:71], s[2:3], v[72:73], v[30:31]
	v_fmac_f64_e32 v[30:31], s[6:7], v[72:73]
	v_mul_f64 v[74:75], v[30:31], s[6:7]
	v_mul_f64 v[154:155], v[38:39], v[114:115]
	v_fmac_f64_e32 v[74:75], -0.5, v[84:85]
	v_mul_f64 v[114:115], v[22:23], v[114:115]
	v_fmac_f64_e32 v[154:155], v[22:23], v[112:113]
	v_mul_f64 v[72:73], v[70:71], s[6:7]
	v_add_f64 v[90:91], v[64:65], v[74:75]
	v_add_f64 v[104:105], v[64:65], -v[74:75]
	v_add_f64 v[64:65], v[54:55], v[28:29]
	v_fma_f64 v[22:23], v[38:39], v[112:113], -v[114:115]
	v_fma_f64 v[10:11], v[10:11], v[122:123], -v[40:41]
	;; [unrolled: 1-line block ×4, first 2 shown]
	v_add_f64 v[80:81], v[56:57], v[68:69]
	v_fmac_f64_e32 v[72:73], 0.5, v[0:1]
	v_add_f64 v[100:101], v[56:57], -v[68:69]
	v_add_f64 v[56:57], v[2:3], v[54:55]
	v_fmac_f64_e32 v[2:3], -0.5, v[64:65]
	v_add_f64 v[64:65], v[26:27], -v[18:19]
	v_add_f64 v[68:69], v[154:155], v[92:93]
	v_add_f64 v[82:83], v[66:67], v[72:73]
	v_add_f64 v[102:103], v[66:67], -v[72:73]
	v_fma_f64 v[66:67], s[6:7], v[64:65], v[2:3]
	v_fmac_f64_e32 v[2:3], s[2:3], v[64:65]
	v_add_f64 v[64:65], v[50:51], v[154:155]
	v_fmac_f64_e32 v[50:51], -0.5, v[68:69]
	v_add_f64 v[68:69], v[22:23], -v[10:11]
	v_fma_f64 v[72:73], s[6:7], v[68:69], v[50:51]
	v_fmac_f64_e32 v[50:51], s[2:3], v[68:69]
	v_add_f64 v[68:69], v[22:23], v[10:11]
	v_fma_f64 v[74:75], -0.5, v[68:69], v[12:13]
	v_add_f64 v[68:69], v[154:155], -v[92:93]
	v_fma_f64 v[76:77], s[2:3], v[68:69], v[74:75]
	v_add_f64 v[56:57], v[56:57], v[28:29]
	v_add_f64 v[64:65], v[64:65], v[92:93]
	v_fmac_f64_e32 v[74:75], s[6:7], v[68:69]
	v_mul_f64 v[68:69], v[76:77], s[6:7]
	v_add_f64 v[92:93], v[56:57], v[64:65]
	v_fmac_f64_e32 v[68:69], 0.5, v[72:73]
	v_add_f64 v[110:111], v[56:57], -v[64:65]
	v_add_f64 v[56:57], v[52:53], v[14:15]
	v_add_f64 v[106:107], v[66:67], v[68:69]
	v_mul_f64 v[78:79], v[74:75], s[6:7]
	v_add_f64 v[112:113], v[66:67], -v[68:69]
	v_fma_f64 v[56:57], -0.5, v[56:57], v[48:49]
	v_add_f64 v[66:67], v[38:39], -v[42:43]
	v_fmac_f64_e32 v[78:79], -0.5, v[50:51]
	v_fma_f64 v[64:65], s[6:7], v[66:67], v[56:57]
	v_fmac_f64_e32 v[56:57], s[2:3], v[66:67]
	v_add_f64 v[66:67], v[38:39], v[42:43]
	v_add_f64 v[108:109], v[2:3], v[78:79]
	v_add_f64 v[2:3], v[2:3], -v[78:79]
	v_fma_f64 v[66:67], -0.5, v[66:67], v[34:35]
	v_add_f64 v[78:79], v[52:53], -v[14:15]
	v_fma_f64 v[68:69], s[2:3], v[78:79], v[66:67]
	v_fmac_f64_e32 v[66:67], s[6:7], v[78:79]
	v_mul_u32_u24_e32 v78, 0x360, v89
	v_mov_b32_e32 v89, 3
	v_lshlrev_b32_sdwa v79, v89, v156 dst_sel:DWORD dst_unused:UNUSED_PAD src0_sel:DWORD src1_sel:BYTE_0
	v_add3_u32 v79, 0, v78, v79
	ds_write2_b64 v79, v[80:81], v[82:83] offset1:18
	ds_write2_b64 v79, v[90:91], v[100:101] offset0:36 offset1:54
	ds_write2_b64 v79, v[102:103], v[104:105] offset0:72 offset1:90
	v_mul_u32_u24_e32 v78, 0x360, v157
	v_lshlrev_b32_sdwa v80, v89, v158 dst_sel:DWORD dst_unused:UNUSED_PAD src0_sel:DWORD src1_sel:BYTE_0
	v_add3_u32 v80, 0, v78, v80
	v_lshlrev_b32_e32 v78, 3, v159
	ds_write2_b64 v80, v[92:93], v[106:107] offset1:18
	ds_write2_b64 v80, v[108:109], v[110:111] offset0:36 offset1:54
	ds_write2_b64 v80, v[112:113], v[2:3] offset0:72 offset1:90
	s_and_saveexec_b64 s[8:9], vcc
	s_cbranch_execz .LBB0_31
; %bb.30:
	v_add_f64 v[82:83], v[32:33], v[36:37]
	v_fma_f64 v[82:83], -0.5, v[82:83], v[60:61]
	v_add_f64 v[60:61], v[60:61], v[32:33]
	v_add_f64 v[48:49], v[48:49], v[52:53]
	v_add_f64 v[2:3], v[40:41], -v[46:47]
	v_add_f64 v[60:61], v[60:61], v[36:37]
	v_add_f64 v[14:15], v[48:49], v[14:15]
	v_fma_f64 v[90:91], s[2:3], v[2:3], v[82:83]
	v_fmac_f64_e32 v[82:83], s[6:7], v[2:3]
	v_mul_f64 v[2:3], v[68:69], s[6:7]
	v_add_f64 v[48:49], v[60:61], -v[14:15]
	v_add_f64 v[14:15], v[60:61], v[14:15]
	v_mul_lo_u16_e32 v60, 0x6c, v88
	v_mul_f64 v[92:93], v[66:67], s[6:7]
	v_fmac_f64_e32 v[2:3], 0.5, v[64:65]
	v_lshlrev_b32_e32 v60, 3, v60
	v_fmac_f64_e32 v[92:93], -0.5, v[56:57]
	v_add_f64 v[102:103], v[82:83], -v[2:3]
	v_add_f64 v[2:3], v[82:83], v[2:3]
	v_add3_u32 v60, 0, v78, v60
	v_add_f64 v[100:101], v[90:91], -v[92:93]
	v_add_f64 v[52:53], v[90:91], v[92:93]
	ds_write2_b64 v60, v[14:15], v[2:3] offset1:18
	ds_write2_b64 v60, v[52:53], v[48:49] offset0:36 offset1:54
	ds_write2_b64 v60, v[102:103], v[100:101] offset0:72 offset1:90
.LBB0_31:
	s_or_b64 exec, exec, s[8:9]
	v_add_f64 v[14:15], v[24:25], v[16:17]
	v_add_f64 v[2:3], v[4:5], v[24:25]
	v_fma_f64 v[4:5], -0.5, v[14:15], v[4:5]
	v_add_f64 v[14:15], v[86:87], -v[58:59]
	v_add_f64 v[2:3], v[2:3], v[16:17]
	v_fma_f64 v[16:17], s[2:3], v[14:15], v[4:5]
	v_fmac_f64_e32 v[4:5], s[6:7], v[14:15]
	v_add_f64 v[14:15], v[44:45], v[20:21]
	v_add_f64 v[8:9], v[14:15], v[8:9]
	v_mul_f64 v[14:15], v[70:71], 0.5
	v_fmac_f64_e32 v[14:15], s[2:3], v[0:1]
	v_mul_f64 v[0:1], v[30:31], -0.5
	v_add_f64 v[44:45], v[2:3], v[8:9]
	v_fmac_f64_e32 v[0:1], s[2:3], v[84:85]
	v_add_f64 v[58:59], v[2:3], -v[8:9]
	v_add_f64 v[2:3], v[26:27], v[18:19]
	v_add_f64 v[52:53], v[4:5], v[0:1]
	v_add_f64 v[70:71], v[4:5], -v[0:1]
	v_add_f64 v[0:1], v[6:7], v[26:27]
	v_fmac_f64_e32 v[6:7], -0.5, v[2:3]
	v_add_f64 v[2:3], v[54:55], -v[28:29]
	v_mul_f64 v[8:9], v[76:77], 0.5
	v_fma_f64 v[4:5], s[2:3], v[2:3], v[6:7]
	v_fmac_f64_e32 v[6:7], s[6:7], v[2:3]
	v_add_f64 v[2:3], v[12:13], v[22:23]
	v_fmac_f64_e32 v[8:9], s[2:3], v[72:73]
	v_add_f64 v[2:3], v[2:3], v[10:11]
	v_add_f64 v[72:73], v[4:5], v[8:9]
	v_mul_f64 v[10:11], v[74:75], -0.5
	v_add_f64 v[76:77], v[4:5], -v[8:9]
	v_add_u32_e32 v4, 0x400, v99
	v_fmac_f64_e32 v[10:11], s[2:3], v[50:51]
	s_waitcnt lgkmcnt(0)
	s_barrier
	ds_read2_b64 v[20:23], v4 offset0:88 offset1:196
	v_add_u32_e32 v4, 0xc00, v99
	v_add_f64 v[50:51], v[6:7], v[10:11]
	v_add_f64 v[82:83], v[6:7], -v[10:11]
	ds_read2_b64 v[8:11], v4 offset0:48 offset1:156
	v_add_u32_e32 v4, 0x1000, v97
	v_add_u32_e32 v12, 0x2000, v97
	v_add_f64 v[48:49], v[16:17], v[14:15]
	v_add_f64 v[60:61], v[16:17], -v[14:15]
	v_add_f64 v[0:1], v[0:1], v[18:19]
	ds_read2_b64 v[16:19], v4 offset0:136 offset1:244
	v_add_u32_e32 v4, 0x1800, v97
	ds_read2_b64 v[24:27], v12 offset0:56 offset1:164
	v_add_u32_e32 v12, 0x2800, v97
	v_add_u32_e32 v28, 0x2c00, v97
	v_add_f64 v[54:55], v[0:1], v[2:3]
	v_add_f64 v[74:75], v[0:1], -v[2:3]
	ds_read2_b64 v[0:3], v97 offset1:108
	ds_read2_b64 v[4:7], v4 offset0:96 offset1:204
	ds_read2_b64 v[12:15], v12 offset0:16 offset1:124
	;; [unrolled: 1-line block ×3, first 2 shown]
	s_waitcnt lgkmcnt(0)
	s_barrier
	ds_write2_b64 v79, v[44:45], v[48:49] offset1:18
	ds_write2_b64 v79, v[52:53], v[58:59] offset0:36 offset1:54
	ds_write2_b64 v79, v[60:61], v[70:71] offset0:72 offset1:90
	ds_write2_b64 v80, v[54:55], v[72:73] offset1:18
	ds_write2_b64 v80, v[50:51], v[74:75] offset0:36 offset1:54
	ds_write2_b64 v80, v[76:77], v[82:83] offset0:72 offset1:90
	s_and_saveexec_b64 s[2:3], vcc
	s_cbranch_execz .LBB0_33
; %bb.32:
	v_add_f64 v[44:45], v[62:63], v[40:41]
	v_add_f64 v[40:41], v[40:41], v[46:47]
	s_mov_b32 s6, 0xe8584caa
	v_fmac_f64_e32 v[62:63], -0.5, v[40:41]
	v_add_f64 v[32:33], v[32:33], -v[36:37]
	s_mov_b32 s7, 0x3febb67a
	s_mov_b32 s9, 0xbfebb67a
	;; [unrolled: 1-line block ×3, first 2 shown]
	v_fma_f64 v[36:37], s[6:7], v[32:33], v[62:63]
	v_fmac_f64_e32 v[62:63], s[8:9], v[32:33]
	v_add_f64 v[32:33], v[34:35], v[38:39]
	v_add_f64 v[32:33], v[32:33], v[42:43]
	v_mul_f64 v[38:39], v[68:69], 0.5
	v_mul_f64 v[42:43], v[66:67], -0.5
	v_fmac_f64_e32 v[38:39], s[6:7], v[64:65]
	v_fmac_f64_e32 v[42:43], s[6:7], v[56:57]
	v_add_f64 v[44:45], v[44:45], v[46:47]
	v_add_f64 v[40:41], v[36:37], v[38:39]
	v_add_f64 v[46:47], v[62:63], v[42:43]
	v_add_f64 v[36:37], v[36:37], -v[38:39]
	v_add_f64 v[38:39], v[62:63], -v[42:43]
	v_mul_lo_u16_e32 v42, 0x6c, v88
	v_lshlrev_b32_e32 v42, 3, v42
	v_add_f64 v[34:35], v[44:45], v[32:33]
	v_add3_u32 v42, 0, v78, v42
	v_add_f64 v[32:33], v[44:45], -v[32:33]
	ds_write2_b64 v42, v[34:35], v[40:41] offset1:18
	ds_write2_b64 v42, v[46:47], v[32:33] offset0:36 offset1:54
	ds_write2_b64 v42, v[36:37], v[38:39] offset0:72 offset1:90
.LBB0_33:
	s_or_b64 exec, exec, s[2:3]
	s_waitcnt lgkmcnt(0)
	s_barrier
	s_and_saveexec_b64 s[2:3], s[0:1]
	s_cbranch_execz .LBB0_35
; %bb.34:
	v_mul_u32_u24_e32 v32, 15, v98
	v_lshlrev_b32_e32 v92, 4, v32
	global_load_dwordx4 v[32:35], v92, s[4:5] offset:1792
	global_load_dwordx4 v[36:39], v92, s[4:5] offset:1728
	;; [unrolled: 1-line block ×15, first 2 shown]
	v_add_u32_e32 v92, 0x1800, v97
	v_add_u32_e32 v120, 0x2000, v97
	;; [unrolled: 1-line block ×3, first 2 shown]
	ds_read2_b64 v[100:103], v97 offset1:108
	v_add_u32_e32 v93, 0xc00, v99
	v_add_u32_e32 v98, 0x2800, v97
	;; [unrolled: 1-line block ×4, first 2 shown]
	ds_read2_b64 v[104:107], v92 offset0:96 offset1:204
	ds_read2_b64 v[108:111], v93 offset0:48 offset1:156
	;; [unrolled: 1-line block ×7, first 2 shown]
	s_mov_b32 s0, 0x667f3bcd
	s_mov_b32 s1, 0x3fe6a09e
	;; [unrolled: 1-line block ×12, first 2 shown]
	v_mov_b32_e32 v97, 0
	s_movk_i32 s11, 0x1000
	s_movk_i32 s10, 0x2000
	s_waitcnt vmcnt(14)
	v_mul_f64 v[92:93], v[4:5], v[34:35]
	s_waitcnt lgkmcnt(6)
	v_fma_f64 v[92:93], v[104:105], v[32:33], -v[92:93]
	s_waitcnt vmcnt(13)
	v_mul_f64 v[98:99], v[8:9], v[36:37]
	s_waitcnt vmcnt(11)
	v_mul_f64 v[134:135], v[20:21], v[46:47]
	s_waitcnt lgkmcnt(3)
	v_mul_f64 v[46:47], v[116:117], v[46:47]
	s_waitcnt vmcnt(9)
	v_mul_f64 v[138:139], v[16:17], v[52:53]
	s_waitcnt vmcnt(8)
	v_mul_f64 v[140:141], v[28:29], v[56:57]
	v_mul_f64 v[16:17], v[16:17], v[54:55]
	;; [unrolled: 1-line block ×3, first 2 shown]
	v_fmac_f64_e32 v[46:47], v[20:21], v[44:45]
	s_waitcnt lgkmcnt(1)
	v_fma_f64 v[20:21], v[124:125], v[52:53], -v[16:17]
	s_waitcnt lgkmcnt(0)
	v_fma_f64 v[16:17], v[128:129], v[56:57], -v[28:29]
	v_add_f64 v[52:53], v[100:101], -v[92:93]
	s_waitcnt vmcnt(1)
	v_mul_f64 v[154:155], v[18:19], v[84:85]
	v_add_f64 v[92:93], v[20:21], -v[16:17]
	s_waitcnt vmcnt(0)
	v_mul_f64 v[16:17], v[30:31], v[88:89]
	v_fmac_f64_e32 v[138:139], v[124:125], v[54:55]
	v_fmac_f64_e32 v[140:141], v[128:129], v[58:59]
	;; [unrolled: 1-line block ×4, first 2 shown]
	v_mul_f64 v[142:143], v[2:3], v[62:63]
	v_mul_f64 v[150:151], v[22:23], v[78:79]
	v_add_f64 v[58:59], v[138:139], -v[140:141]
	v_add_f64 v[140:141], v[154:155], -v[16:17]
	v_mul_f64 v[78:79], v[118:119], v[78:79]
	v_mul_f64 v[16:17], v[122:123], v[82:83]
	;; [unrolled: 1-line block ×3, first 2 shown]
	v_fmac_f64_e32 v[78:79], v[22:23], v[76:77]
	v_fmac_f64_e32 v[16:17], v[26:27], v[80:81]
	;; [unrolled: 1-line block ×3, first 2 shown]
	v_mul_f64 v[2:3], v[106:107], v[66:67]
	v_mul_f64 v[132:133], v[12:13], v[40:41]
	;; [unrolled: 1-line block ×4, first 2 shown]
	v_add_f64 v[22:23], v[78:79], -v[16:17]
	v_mul_f64 v[16:17], v[18:19], v[86:87]
	v_fmac_f64_e32 v[2:3], v[6:7], v[64:65]
	v_mul_f64 v[8:9], v[8:9], v[38:39]
	v_mul_f64 v[12:13], v[12:13], v[42:43]
	;; [unrolled: 1-line block ×4, first 2 shown]
	v_fmac_f64_e32 v[50:51], v[24:25], v[48:49]
	v_fma_f64 v[24:25], v[102:103], v[60:61], -v[142:143]
	v_fma_f64 v[18:19], v[126:127], v[84:85], -v[16:17]
	v_mul_f64 v[16:17], v[30:31], v[90:91]
	v_add_f64 v[60:61], v[62:63], -v[2:3]
	v_mul_f64 v[2:3], v[10:11], v[70:71]
	v_mul_f64 v[6:7], v[14:15], v[74:75]
	v_fma_f64 v[8:9], v[108:109], v[36:37], -v[8:9]
	v_fma_f64 v[12:13], v[112:113], v[40:41], -v[12:13]
	v_mul_f64 v[14:15], v[104:105], v[34:35]
	v_mul_f64 v[146:147], v[10:11], v[68:69]
	;; [unrolled: 1-line block ×3, first 2 shown]
	v_fma_f64 v[116:117], v[116:117], v[44:45], -v[134:135]
	v_fma_f64 v[120:121], v[120:121], v[48:49], -v[136:137]
	;; [unrolled: 1-line block ×6, first 2 shown]
	v_add_f64 v[12:13], v[8:9], -v[12:13]
	v_fmac_f64_e32 v[14:15], v[4:5], v[32:33]
	v_fmac_f64_e32 v[98:99], v[108:109], v[38:39]
	v_fmac_f64_e32 v[132:133], v[112:113], v[42:43]
	v_fmac_f64_e32 v[146:147], v[110:111], v[70:71]
	v_fmac_f64_e32 v[148:149], v[114:115], v[74:75]
	v_fma_f64 v[44:45], v[118:119], v[76:77], -v[150:151]
	v_fma_f64 v[48:49], v[122:123], v[80:81], -v[152:153]
	v_add_f64 v[56:57], v[116:117], -v[120:121]
	v_add_f64 v[50:51], v[46:47], -v[50:51]
	;; [unrolled: 1-line block ×6, first 2 shown]
	v_fma_f64 v[36:37], v[100:101], 2.0, -v[52:53]
	v_fma_f64 v[8:9], v[8:9], 2.0, -v[12:13]
	v_add_f64 v[54:55], v[98:99], -v[132:133]
	v_add_f64 v[120:121], v[146:147], -v[148:149]
	;; [unrolled: 1-line block ×4, first 2 shown]
	v_add_f64 v[132:133], v[50:51], v[92:93]
	v_add_f64 v[30:31], v[22:23], v[26:27]
	;; [unrolled: 1-line block ×4, first 2 shown]
	v_add_f64 v[12:13], v[36:37], -v[8:9]
	v_fma_f64 v[40:41], v[46:47], 2.0, -v[50:51]
	v_fma_f64 v[8:9], v[138:139], 2.0, -v[58:59]
	;; [unrolled: 1-line block ×4, first 2 shown]
	v_add_f64 v[134:135], v[28:29], -v[120:121]
	v_add_f64 v[142:143], v[48:49], -v[140:141]
	v_fma_f64 v[66:67], s[0:1], v[30:31], v[64:65]
	v_fma_f64 v[38:39], s[0:1], v[132:133], v[34:35]
	v_add_f64 v[42:43], v[40:41], -v[8:9]
	v_add_f64 v[68:69], v[58:59], -v[2:3]
	v_fma_f64 v[70:71], v[78:79], 2.0, -v[22:23]
	v_fma_f64 v[2:3], v[154:155], 2.0, -v[140:141]
	;; [unrolled: 1-line block ×4, first 2 shown]
	v_add_f64 v[124:125], v[52:53], -v[54:55]
	v_fma_f64 v[144:145], s[0:1], v[142:143], v[134:135]
	v_fmac_f64_e32 v[66:67], s[0:1], v[142:143]
	v_fmac_f64_e32 v[38:39], s[0:1], v[128:129]
	v_add_f64 v[72:73], v[70:71], -v[2:3]
	v_add_f64 v[76:77], v[62:63], -v[8:9]
	v_fma_f64 v[44:45], v[44:45], 2.0, -v[48:49]
	v_fma_f64 v[8:9], v[18:19], 2.0, -v[26:27]
	v_fma_f64 v[136:137], s[0:1], v[128:129], v[124:125]
	v_fmac_f64_e32 v[144:145], s[2:3], v[30:31]
	v_fma_f64 v[14:15], s[6:7], v[66:67], v[38:39]
	v_add_f64 v[46:47], v[12:13], -v[42:43]
	v_add_f64 v[74:75], v[68:69], -v[72:73]
	;; [unrolled: 1-line block ×3, first 2 shown]
	v_fmac_f64_e32 v[136:137], s[2:3], v[132:133]
	v_fmac_f64_e32 v[14:15], s[8:9], v[144:145]
	v_fma_f64 v[2:3], s[0:1], v[74:75], v[46:47]
	v_add_f64 v[78:79], v[76:77], v[26:27]
	v_fma_f64 v[4:5], v[38:39], 2.0, -v[14:15]
	v_fmac_f64_e32 v[2:3], s[2:3], v[78:79]
	v_fma_f64 v[22:23], v[22:23], 2.0, -v[30:31]
	v_fma_f64 v[30:31], v[40:41], 2.0, -v[42:43]
	;; [unrolled: 1-line block ×14, first 2 shown]
	v_fma_f64 v[36:37], s[4:5], v[42:43], v[40:41]
	v_fma_f64 v[34:35], s[4:5], v[44:45], v[38:39]
	v_fma_f64 v[12:13], v[12:13], 2.0, -v[46:47]
	v_fma_f64 v[46:47], v[68:69], 2.0, -v[74:75]
	v_add_f64 v[82:83], v[80:81], -v[8:9]
	v_add_f64 v[54:55], v[84:85], -v[0:1]
	v_fmac_f64_e32 v[36:37], s[12:13], v[44:45]
	v_fmac_f64_e32 v[34:35], s[6:7], v[42:43]
	v_fma_f64 v[44:45], s[2:3], v[46:47], v[12:13]
	v_fma_f64 v[42:43], v[76:77], 2.0, -v[78:79]
	v_add_f64 v[86:87], v[54:55], v[82:83]
	v_fmac_f64_e32 v[44:45], s[2:3], v[42:43]
	v_fma_f64 v[52:53], v[52:53], 2.0, -v[124:125]
	v_fma_f64 v[18:19], v[56:57], 2.0, -v[128:129]
	;; [unrolled: 1-line block ×6, first 2 shown]
	v_fma_f64 v[56:57], s[2:3], v[18:19], v[52:53]
	v_fma_f64 v[50:51], v[50:51], 2.0, -v[132:133]
	v_fma_f64 v[90:91], s[2:3], v[24:25], v[88:89]
	v_fma_f64 v[60:61], v[60:61], 2.0, -v[64:65]
	v_fma_f64 v[42:43], s[2:3], v[42:43], v[12:13]
	v_fmac_f64_e32 v[56:57], s[2:3], v[50:51]
	v_fmac_f64_e32 v[90:91], s[2:3], v[22:23]
	v_fma_f64 v[92:93], s[2:3], v[22:23], v[60:61]
	v_fma_f64 v[28:29], v[80:81], 2.0, -v[82:83]
	v_fmac_f64_e32 v[42:43], s[0:1], v[46:47]
	v_fmac_f64_e32 v[92:93], s[0:1], v[24:25]
	v_fma_f64 v[50:51], s[2:3], v[50:51], v[98:99]
	v_add_f64 v[80:81], v[100:101], -v[28:29]
	v_fma_f64 v[28:29], v[70:71], 2.0, -v[72:73]
	v_fma_f64 v[72:73], v[84:85], 2.0, -v[54:55]
	;; [unrolled: 1-line block ×5, first 2 shown]
	v_fma_f64 v[20:21], s[8:9], v[90:91], v[56:57]
	v_fmac_f64_e32 v[50:51], s[0:1], v[18:19]
	v_fma_f64 v[52:53], s[12:13], v[54:55], v[12:13]
	v_fma_f64 v[60:61], v[60:61], 2.0, -v[92:93]
	v_fmac_f64_e32 v[20:21], s[12:13], v[92:93]
	v_fma_f64 v[18:19], s[8:9], v[92:93], v[50:51]
	v_fmac_f64_e32 v[52:53], s[4:5], v[60:61]
	v_fma_f64 v[24:25], v[56:57], 2.0, -v[20:21]
	v_fmac_f64_e32 v[18:19], s[6:7], v[90:91]
	v_fma_f64 v[56:57], v[12:13], 2.0, -v[52:53]
	v_fma_f64 v[12:13], v[98:99], 2.0, -v[50:51]
	;; [unrolled: 1-line block ×4, first 2 shown]
	v_fma_f64 v[50:51], s[12:13], v[60:61], v[12:13]
	v_add_f64 v[84:85], v[58:59], -v[26:27]
	v_fmac_f64_e32 v[50:51], s[8:9], v[54:55]
	v_fma_f64 v[62:63], v[62:63], 2.0, -v[76:77]
	v_fma_f64 v[54:55], v[12:13], 2.0, -v[50:51]
	;; [unrolled: 1-line block ×4, first 2 shown]
	v_add_f64 v[70:71], v[62:63], -v[28:29]
	v_add_f64 v[82:83], v[72:73], -v[30:31]
	;; [unrolled: 1-line block ×3, first 2 shown]
	v_fma_f64 v[64:65], v[12:13], 2.0, -v[60:61]
	v_fma_f64 v[12:13], v[72:73], 2.0, -v[82:83]
	;; [unrolled: 1-line block ×3, first 2 shown]
	v_add_f64 v[58:59], v[12:13], -v[58:59]
	v_fma_f64 v[62:63], v[12:13], 2.0, -v[58:59]
	v_lshl_add_u64 v[12:13], v[96:97], 4, v[94:95]
	v_add_f64 v[26:27], v[82:83], v[84:85]
	global_store_dwordx4 v[12:13], v[62:65], off
	global_store_dwordx4 v[12:13], v[54:57], off offset:1728
	global_store_dwordx4 v[12:13], v[46:49], off offset:3456
	v_add_f64 v[28:29], v[80:81], -v[70:71]
	v_fma_f64 v[30:31], v[82:83], 2.0, -v[26:27]
	v_add_co_u32_e32 v46, vcc, s11, v12
	v_fma_f64 v[40:41], v[40:41], 2.0, -v[36:37]
	v_fma_f64 v[38:39], v[38:39], 2.0, -v[34:35]
	v_addc_co_u32_e32 v47, vcc, 0, v13, vcc
	v_fma_f64 v[16:17], s[6:7], v[144:145], v[136:137]
	v_fma_f64 v[0:1], s[0:1], v[78:79], v[86:87]
	v_fma_f64 v[32:33], v[80:81], 2.0, -v[28:29]
	global_store_dwordx4 v[46:47], v[38:41], off offset:1088
	global_store_dwordx4 v[46:47], v[30:33], off offset:2816
	v_fmac_f64_e32 v[16:17], s[4:5], v[66:67]
	v_fmac_f64_e32 v[0:1], s[0:1], v[74:75]
	v_add_co_u32_e32 v30, vcc, s10, v12
	s_movk_i32 s0, 0x3000
	s_nop 0
	v_addc_co_u32_e32 v31, vcc, 0, v13, vcc
	v_fma_f64 v[6:7], v[136:137], 2.0, -v[16:17]
	v_fma_f64 v[8:9], v[86:87], 2.0, -v[0:1]
	global_store_dwordx4 v[30:31], v[22:25], off offset:448
	global_store_dwordx4 v[30:31], v[8:11], off offset:2176
	;; [unrolled: 1-line block ×3, first 2 shown]
	s_nop 1
	v_add_co_u32_e32 v4, vcc, s0, v12
	s_movk_i32 s0, 0x4000
	s_nop 0
	v_addc_co_u32_e32 v5, vcc, 0, v13, vcc
	global_store_dwordx4 v[4:5], v[58:61], off offset:1536
	global_store_dwordx4 v[4:5], v[50:53], off offset:3264
	v_add_co_u32_e32 v4, vcc, s0, v12
	s_movk_i32 s0, 0x5000
	s_nop 0
	v_addc_co_u32_e32 v5, vcc, 0, v13, vcc
	global_store_dwordx4 v[4:5], v[42:45], off offset:896
	global_store_dwordx4 v[4:5], v[34:37], off offset:2624
	v_add_co_u32_e32 v4, vcc, s0, v12
	s_nop 1
	v_addc_co_u32_e32 v5, vcc, 0, v13, vcc
	global_store_dwordx4 v[4:5], v[26:29], off offset:256
	global_store_dwordx4 v[4:5], v[18:21], off offset:1984
	;; [unrolled: 1-line block ×3, first 2 shown]
	s_nop 1
	v_add_co_u32_e32 v0, vcc, 0x6000, v12
	s_nop 1
	v_addc_co_u32_e32 v1, vcc, 0, v13, vcc
	global_store_dwordx4 v[0:1], v[14:17], off offset:1344
.LBB0_35:
	s_endpgm
	.section	.rodata,"a",@progbits
	.p2align	6, 0x0
	.amdhsa_kernel fft_rtc_back_len1728_factors_3_6_6_16_wgs_108_tpt_108_halfLds_dp_ip_CI_unitstride_sbrr_dirReg
		.amdhsa_group_segment_fixed_size 0
		.amdhsa_private_segment_fixed_size 0
		.amdhsa_kernarg_size 88
		.amdhsa_user_sgpr_count 2
		.amdhsa_user_sgpr_dispatch_ptr 0
		.amdhsa_user_sgpr_queue_ptr 0
		.amdhsa_user_sgpr_kernarg_segment_ptr 1
		.amdhsa_user_sgpr_dispatch_id 0
		.amdhsa_user_sgpr_kernarg_preload_length 0
		.amdhsa_user_sgpr_kernarg_preload_offset 0
		.amdhsa_user_sgpr_private_segment_size 0
		.amdhsa_uses_dynamic_stack 0
		.amdhsa_enable_private_segment 0
		.amdhsa_system_sgpr_workgroup_id_x 1
		.amdhsa_system_sgpr_workgroup_id_y 0
		.amdhsa_system_sgpr_workgroup_id_z 0
		.amdhsa_system_sgpr_workgroup_info 0
		.amdhsa_system_vgpr_workitem_id 0
		.amdhsa_next_free_vgpr 163
		.amdhsa_next_free_sgpr 22
		.amdhsa_accum_offset 164
		.amdhsa_reserve_vcc 1
		.amdhsa_float_round_mode_32 0
		.amdhsa_float_round_mode_16_64 0
		.amdhsa_float_denorm_mode_32 3
		.amdhsa_float_denorm_mode_16_64 3
		.amdhsa_dx10_clamp 1
		.amdhsa_ieee_mode 1
		.amdhsa_fp16_overflow 0
		.amdhsa_tg_split 0
		.amdhsa_exception_fp_ieee_invalid_op 0
		.amdhsa_exception_fp_denorm_src 0
		.amdhsa_exception_fp_ieee_div_zero 0
		.amdhsa_exception_fp_ieee_overflow 0
		.amdhsa_exception_fp_ieee_underflow 0
		.amdhsa_exception_fp_ieee_inexact 0
		.amdhsa_exception_int_div_zero 0
	.end_amdhsa_kernel
	.text
.Lfunc_end0:
	.size	fft_rtc_back_len1728_factors_3_6_6_16_wgs_108_tpt_108_halfLds_dp_ip_CI_unitstride_sbrr_dirReg, .Lfunc_end0-fft_rtc_back_len1728_factors_3_6_6_16_wgs_108_tpt_108_halfLds_dp_ip_CI_unitstride_sbrr_dirReg
                                        ; -- End function
	.section	.AMDGPU.csdata,"",@progbits
; Kernel info:
; codeLenInByte = 9524
; NumSgprs: 28
; NumVgprs: 163
; NumAgprs: 0
; TotalNumVgprs: 163
; ScratchSize: 0
; MemoryBound: 1
; FloatMode: 240
; IeeeMode: 1
; LDSByteSize: 0 bytes/workgroup (compile time only)
; SGPRBlocks: 3
; VGPRBlocks: 20
; NumSGPRsForWavesPerEU: 28
; NumVGPRsForWavesPerEU: 163
; AccumOffset: 164
; Occupancy: 3
; WaveLimiterHint : 1
; COMPUTE_PGM_RSRC2:SCRATCH_EN: 0
; COMPUTE_PGM_RSRC2:USER_SGPR: 2
; COMPUTE_PGM_RSRC2:TRAP_HANDLER: 0
; COMPUTE_PGM_RSRC2:TGID_X_EN: 1
; COMPUTE_PGM_RSRC2:TGID_Y_EN: 0
; COMPUTE_PGM_RSRC2:TGID_Z_EN: 0
; COMPUTE_PGM_RSRC2:TIDIG_COMP_CNT: 0
; COMPUTE_PGM_RSRC3_GFX90A:ACCUM_OFFSET: 40
; COMPUTE_PGM_RSRC3_GFX90A:TG_SPLIT: 0
	.text
	.p2alignl 6, 3212836864
	.fill 256, 4, 3212836864
	.type	__hip_cuid_407a9c096de87f41,@object ; @__hip_cuid_407a9c096de87f41
	.section	.bss,"aw",@nobits
	.globl	__hip_cuid_407a9c096de87f41
__hip_cuid_407a9c096de87f41:
	.byte	0                               ; 0x0
	.size	__hip_cuid_407a9c096de87f41, 1

	.ident	"AMD clang version 19.0.0git (https://github.com/RadeonOpenCompute/llvm-project roc-6.4.0 25133 c7fe45cf4b819c5991fe208aaa96edf142730f1d)"
	.section	".note.GNU-stack","",@progbits
	.addrsig
	.addrsig_sym __hip_cuid_407a9c096de87f41
	.amdgpu_metadata
---
amdhsa.kernels:
  - .agpr_count:     0
    .args:
      - .actual_access:  read_only
        .address_space:  global
        .offset:         0
        .size:           8
        .value_kind:     global_buffer
      - .offset:         8
        .size:           8
        .value_kind:     by_value
      - .actual_access:  read_only
        .address_space:  global
        .offset:         16
        .size:           8
        .value_kind:     global_buffer
      - .actual_access:  read_only
        .address_space:  global
        .offset:         24
        .size:           8
        .value_kind:     global_buffer
      - .offset:         32
        .size:           8
        .value_kind:     by_value
      - .actual_access:  read_only
        .address_space:  global
        .offset:         40
        .size:           8
        .value_kind:     global_buffer
      - .actual_access:  read_only
        .address_space:  global
        .offset:         48
        .size:           8
        .value_kind:     global_buffer
      - .offset:         56
        .size:           4
        .value_kind:     by_value
      - .actual_access:  read_only
        .address_space:  global
        .offset:         64
        .size:           8
        .value_kind:     global_buffer
      - .actual_access:  read_only
        .address_space:  global
        .offset:         72
        .size:           8
        .value_kind:     global_buffer
      - .address_space:  global
        .offset:         80
        .size:           8
        .value_kind:     global_buffer
    .group_segment_fixed_size: 0
    .kernarg_segment_align: 8
    .kernarg_segment_size: 88
    .language:       OpenCL C
    .language_version:
      - 2
      - 0
    .max_flat_workgroup_size: 108
    .name:           fft_rtc_back_len1728_factors_3_6_6_16_wgs_108_tpt_108_halfLds_dp_ip_CI_unitstride_sbrr_dirReg
    .private_segment_fixed_size: 0
    .sgpr_count:     28
    .sgpr_spill_count: 0
    .symbol:         fft_rtc_back_len1728_factors_3_6_6_16_wgs_108_tpt_108_halfLds_dp_ip_CI_unitstride_sbrr_dirReg.kd
    .uniform_work_group_size: 1
    .uses_dynamic_stack: false
    .vgpr_count:     163
    .vgpr_spill_count: 0
    .wavefront_size: 64
amdhsa.target:   amdgcn-amd-amdhsa--gfx950
amdhsa.version:
  - 1
  - 2
...

	.end_amdgpu_metadata
